;; amdgpu-corpus repo=ROCm/bitsandbytes kind=harvested arch=n/a opt=n/a
	.text
	.amdgcn_target "amdgcn-amd-amdhsa--gfx942"
	.amdhsa_code_object_version 6
	.protected	_Z26kgemm_4bit_inference_naiveI6__halfLi128ELi16EEviiiPT_PhPfPKfS2_iiii ; -- Begin function _Z26kgemm_4bit_inference_naiveI6__halfLi128ELi16EEviiiPT_PhPfPKfS2_iiii
	.globl	_Z26kgemm_4bit_inference_naiveI6__halfLi128ELi16EEviiiPT_PhPfPKfS2_iiii
	.p2align	8
	.type	_Z26kgemm_4bit_inference_naiveI6__halfLi128ELi16EEviiiPT_PhPfPKfS2_iiii,@function
_Z26kgemm_4bit_inference_naiveI6__halfLi128ELi16EEviiiPT_PhPfPKfS2_iiii: ; @_Z26kgemm_4bit_inference_naiveI6__halfLi128ELi16EEviiiPT_PhPfPKfS2_iiii
; %bb.0:
	s_load_dwordx8 s[8:15], s[0:1], 0x18
	v_cmp_gt_u32_e32 vcc, 16, v0
	s_and_saveexec_b64 s[4:5], vcc
	s_cbranch_execz .LBB28_2
; %bb.1:
	v_lshlrev_b32_e32 v1, 2, v0
	s_waitcnt lgkmcnt(0)
	global_load_dword v1, v1, s[12:13]
	v_lshlrev_b32_e32 v2, 1, v0
	s_waitcnt vmcnt(0)
	v_cvt_f16_f32_e32 v1, v1
	ds_write_b16 v2, v1
.LBB28_2:
	s_or_b64 exec, exec, s[4:5]
	s_load_dword s33, s[0:1], 0x0
	s_load_dword s66, s[0:1], 0x8
	v_and_b32_e32 v17, 63, v0
	v_lshrrev_b32_e32 v1, 6, v0
	v_lshlrev_b32_e32 v24, 5, v17
	v_lshl_add_u32 v16, s2, 1, v1
	s_waitcnt lgkmcnt(0)
	v_cmp_gt_i32_e32 vcc, s66, v24
	v_mov_b32_e32 v30, 0
	s_barrier
	s_and_saveexec_b64 s[6:7], vcc
	s_cbranch_execz .LBB28_130
; %bb.3:
	s_load_dword s2, s[0:1], 0x3c
	s_load_dword s3, s[0:1], 0x44
	s_load_dwordx2 s[12:13], s[0:1], 0x10
	s_lshr_b32 s68, s66, 1
	s_add_i32 s69, s68, -16
	v_lshlrev_b32_e32 v18, 6, v17
	s_waitcnt lgkmcnt(0)
	s_flbit_i32_b32 s0, s3
	s_min_u32 s0, s0, 32
	s_sub_i32 s67, 31, s0
	s_add_u32 s16, s8, 1
	s_addc_u32 s17, s9, 0
	s_add_u32 s18, s8, 2
	s_addc_u32 s19, s9, 0
	;; [unrolled: 2-line block ×17, first 2 shown]
	v_mov_b32_e32 v19, 0
	v_mul_lo_u32 v25, v16, s2
	s_add_u32 s52, s12, 48
	v_lshl_add_u64 v[0:1], v[18:19], 0, s[12:13]
	s_movk_i32 s56, 0xffd0
	s_movk_i32 s58, 0xffe0
	v_lshlrev_b32_e32 v26, 1, v25
	v_cmp_gt_i32_e32 vcc, s33, v16
	s_addc_u32 s53, s13, 0
	v_lshl_add_u64 v[20:21], v[0:1], 0, 62
	v_add_u32_e32 v28, 32, v24
	v_lshlrev_b32_e32 v27, 4, v17
	s_mov_b64 s[54:55], 0
	s_movk_i32 s70, 0xffe0
	s_mov_b32 s57, -1
	s_mov_b32 s59, -1
	s_mov_b64 s[60:61], 0x1000
	v_mov_b32_e32 v29, 1
	v_mov_b32_e32 v30, 0
	s_branch .LBB28_5
.LBB28_4:                               ;   in Loop: Header=BB28_5 Depth=1
	s_or_b64 exec, exec, s[0:1]
	v_cvt_f16_f32_e32 v22, v31
	v_add_u32_e32 v24, 0x800, v24
	v_lshl_add_u64 v[20:21], v[20:21], 0, s[60:61]
	v_add_u32_e32 v27, 0x400, v27
	s_waitcnt lgkmcnt(14)
	v_mul_f16_e32 v23, v32, v22
	v_mul_f16_e32 v31, v33, v22
	s_waitcnt vmcnt(0)
	v_mul_f16_e32 v4, v4, v23
	v_mul_f16_e32 v32, v34, v22
	v_cvt_f32_f16_e32 v4, v4
	v_mul_f16_e32 v23, v40, v31
	v_cvt_f32_f16_e32 v23, v23
	v_mul_f16_e32 v5, v5, v32
	v_cvt_f32_f16_e32 v5, v5
	v_mul_f16_e32 v33, v35, v22
	v_add_f32_e32 v4, v30, v4
	v_mul_f16_e32 v34, v36, v22
	v_mul_f16_e32 v31, v41, v33
	v_add_f32_e32 v4, v4, v23
	v_mul_f16_e32 v35, v37, v22
	v_cvt_f32_f16_e32 v31, v31
	v_add_f32_e32 v4, v4, v5
	v_mul_f16_e32 v5, v6, v34
	v_mul_f16_e32 v36, v38, v22
	v_cvt_f32_f16_e32 v5, v5
	v_mul_f16_e32 v6, v42, v35
	v_cvt_f32_f16_e32 v6, v6
	v_mul_f16_e32 v7, v7, v36
	v_mul_f16_e32 v37, v39, v22
	v_cvt_f32_f16_e32 v7, v7
	v_add_f32_e32 v4, v4, v31
	v_mul_f16_e32 v23, v44, v37
	v_cvt_f32_f16_e32 v23, v23
	v_add_f32_e32 v4, v4, v5
	v_mul_f16_e32 v5, v45, v22
	v_add_f32_e32 v4, v4, v6
	v_mul_f16_e32 v6, v46, v22
	v_mul_f16_e32 v5, v8, v5
	v_add_f32_e32 v4, v4, v7
	v_mul_f16_e32 v7, v47, v22
	v_cvt_f32_f16_e32 v5, v5
	v_mul_f16_e32 v6, v53, v6
	v_cvt_f32_f16_e32 v6, v6
	v_mul_f16_e32 v7, v9, v7
	v_add_f32_e32 v4, v4, v23
	v_mul_f16_e32 v23, v48, v22
	v_cvt_f32_f16_e32 v7, v7
	v_mul_f16_e32 v30, v49, v22
	v_mul_f16_e32 v8, v54, v23
	;; [unrolled: 1-line block ×3, first 2 shown]
	v_cvt_f32_f16_e32 v8, v8
	v_add_f32_e32 v4, v4, v5
	v_mul_f16_e32 v5, v10, v30
	v_mul_f16_e32 v32, v51, v22
	v_add_f32_e32 v4, v4, v6
	v_cvt_f32_f16_e32 v5, v5
	v_mul_f16_e32 v6, v55, v31
	v_add_f32_e32 v4, v4, v7
	v_cvt_f32_f16_e32 v6, v6
	v_mul_f16_e32 v7, v11, v32
	v_mul_f16_e32 v33, v52, v22
	v_cvt_f32_f16_e32 v7, v7
	v_add_f32_e32 v4, v4, v8
	v_mul_f16_e32 v8, v56, v33
	v_cvt_f32_f16_e32 v8, v8
	v_add_f32_e32 v4, v4, v5
	v_mul_f16_e32 v5, v57, v22
	v_add_f32_e32 v4, v4, v6
	v_mul_f16_e32 v6, v58, v22
	v_mul_f16_e32 v5, v12, v5
	v_add_f32_e32 v4, v4, v7
	s_waitcnt lgkmcnt(13)
	v_mul_f16_e32 v7, v59, v22
	v_cvt_f32_f16_e32 v5, v5
	v_mul_f16_e32 v6, v65, v6
	v_cvt_f32_f16_e32 v6, v6
	v_mul_f16_e32 v7, v13, v7
	v_add_f32_e32 v4, v4, v8
	s_waitcnt lgkmcnt(12)
	v_mul_f16_e32 v8, v60, v22
	v_cvt_f32_f16_e32 v7, v7
	s_waitcnt lgkmcnt(11)
	v_mul_f16_e32 v9, v61, v22
	v_mul_f16_e32 v8, v66, v8
	s_waitcnt lgkmcnt(10)
	v_mul_f16_e32 v10, v62, v22
	v_cvt_f32_f16_e32 v8, v8
	v_add_f32_e32 v4, v4, v5
	v_mul_f16_e32 v5, v14, v9
	s_waitcnt lgkmcnt(9)
	v_mul_f16_e32 v11, v63, v22
	v_add_f32_e32 v4, v4, v6
	v_cvt_f32_f16_e32 v5, v5
	v_mul_f16_e32 v6, v67, v10
	v_add_f32_e32 v4, v4, v7
	v_cvt_f32_f16_e32 v6, v6
	v_mul_f16_e32 v7, v15, v11
	v_cvt_f32_f16_e32 v7, v7
	s_waitcnt lgkmcnt(8)
	v_mul_f16_e32 v23, v64, v22
	v_add_f32_e32 v4, v4, v8
	v_mul_f16_e32 v8, v68, v23
	v_add_f32_e32 v4, v4, v5
	s_waitcnt lgkmcnt(7)
	v_mul_f16_e32 v5, v43, v22
	v_cvt_f32_f16_e32 v8, v8
	v_add_f32_e32 v4, v4, v6
	s_waitcnt lgkmcnt(6)
	v_mul_f16_e32 v6, v69, v22
	v_mul_f16_e32 v0, v0, v5
	v_add_f32_e32 v4, v4, v7
	s_waitcnt lgkmcnt(5)
	v_mul_f16_e32 v7, v70, v22
	v_cvt_f32_f16_e32 v0, v0
	v_mul_f16_e32 v5, v76, v6
	v_cvt_f32_f16_e32 v5, v5
	;; [unrolled: 2-line block ×3, first 2 shown]
	v_add_f32_e32 v4, v4, v8
	s_waitcnt lgkmcnt(4)
	v_mul_f16_e32 v8, v71, v22
	v_add_f32_e32 v0, v4, v0
	s_waitcnt lgkmcnt(3)
	v_mul_f16_e32 v9, v72, v22
	v_mul_f16_e32 v6, v77, v8
	v_add_f32_e32 v0, v0, v5
	s_waitcnt lgkmcnt(2)
	v_mul_f16_e32 v10, v73, v22
	v_cvt_f32_f16_e32 v6, v6
	v_add_f32_e32 v0, v0, v1
	v_mul_f16_e32 v1, v2, v9
	s_waitcnt lgkmcnt(1)
	v_mul_f16_e32 v11, v74, v22
	v_cvt_f32_f16_e32 v1, v1
	v_mul_f16_e32 v2, v78, v10
	s_waitcnt lgkmcnt(0)
	v_mul_f16_e32 v12, v75, v22
	v_cvt_f32_f16_e32 v2, v2
	v_mul_f16_e32 v3, v3, v11
	v_cvt_f32_f16_e32 v3, v3
	v_mul_f16_e32 v4, v18, v12
	v_add_f32_e32 v0, v0, v6
	v_cvt_f32_f16_e32 v4, v4
	v_add_f32_e32 v0, v0, v1
	v_add_f32_e32 v0, v0, v2
	;; [unrolled: 1-line block ×3, first 2 shown]
	v_add_u32_e32 v1, 0x7e0, v28
	v_add_f32_e32 v30, v0, v4
	v_add_u32_e32 v0, 0x800, v28
	v_cmp_le_i32_e64 s[0:1], s66, v1
	s_or_b64 s[54:55], s[0:1], s[54:55]
	v_mov_b32_e32 v28, v0
	s_andn2_b64 exec, exec, s[54:55]
	s_cbranch_execz .LBB28_129
.LBB28_5:                               ; =>This Inner Loop Header: Depth=1
	v_add3_u32 v0, v26, v28, s70
	v_ashrrev_i32_e32 v0, s67, v0
	v_ashrrev_i32_e32 v1, 31, v0
	v_lshl_add_u64 v[0:1], v[0:1], 2, s[10:11]
	global_load_dword v31, v[0:1], off
	v_mov_b32_e32 v43, 0x77
	v_mov_b32_e32 v23, 0x77
	;; [unrolled: 1-line block ×16, first 2 shown]
	s_and_saveexec_b64 s[2:3], vcc
	s_cbranch_execz .LBB28_11
; %bb.6:                                ;   in Loop: Header=BB28_5 Depth=1
	v_add_u32_e32 v6, v25, v27
	v_cmp_le_i32_e64 s[0:1], s69, v27
	s_mov_b64 s[62:63], 0
	v_ashrrev_i32_e32 v7, 31, v6
                                        ; implicit-def: $vgpr0
                                        ; implicit-def: $vgpr18
                                        ; implicit-def: $vgpr32
                                        ; implicit-def: $vgpr4
                                        ; implicit-def: $vgpr10
                                        ; implicit-def: $vgpr45
                                        ; implicit-def: $vgpr11
                                        ; implicit-def: $vgpr14
                                        ; implicit-def: $vgpr15
                                        ; implicit-def: $vgpr12
                                        ; implicit-def: $vgpr22
                                        ; implicit-def: $vgpr23
                                        ; implicit-def: $sgpr64
                                        ; implicit-def: $vgpr8_vgpr9
	s_and_saveexec_b64 s[4:5], s[0:1]
	s_xor_b64 s[4:5], exec, s[4:5]
	s_cbranch_execnz .LBB28_95
; %bb.7:                                ;   in Loop: Header=BB28_5 Depth=1
	s_andn2_saveexec_b64 s[0:1], s[4:5]
	s_cbranch_execnz .LBB28_128
.LBB28_8:                               ;   in Loop: Header=BB28_5 Depth=1
	s_or_b64 exec, exec, s[0:1]
	v_mov_b32_e32 v43, s64
	s_and_saveexec_b64 s[0:1], s[62:63]
	s_cbranch_execz .LBB28_10
.LBB28_9:                               ;   in Loop: Header=BB28_5 Depth=1
	global_load_ubyte v43, v[8:9], off
.LBB28_10:                              ;   in Loop: Header=BB28_5 Depth=1
	s_or_b64 exec, exec, s[0:1]
.LBB28_11:                              ;   in Loop: Header=BB28_5 Depth=1
	s_or_b64 exec, exec, s[2:3]
	s_waitcnt vmcnt(0)
	v_lshrrev_b16_e32 v5, 4, v0
	v_and_b32_e32 v5, 15, v5
	v_lshrrev_b16_e32 v6, 4, v18
	v_lshrrev_b16_e32 v8, 4, v32
	;; [unrolled: 1-line block ×3, first 2 shown]
	v_lshlrev_b32_sdwa v5, v29, v5 dst_sel:DWORD dst_unused:UNUSED_PAD src0_sel:DWORD src1_sel:WORD_0
	v_and_b32_e32 v0, 15, v0
	v_and_b32_e32 v6, 15, v6
	v_and_b32_e32 v7, 15, v18
	v_and_b32_e32 v8, 15, v8
	v_and_b32_e32 v9, 15, v32
	v_and_b32_e32 v13, 15, v13
	v_and_b32_e32 v4, 15, v4
	v_lshlrev_b32_e32 v0, 1, v0
	v_lshlrev_b32_sdwa v6, v29, v6 dst_sel:DWORD dst_unused:UNUSED_PAD src0_sel:DWORD src1_sel:WORD_0
	v_lshlrev_b32_e32 v7, 1, v7
	v_lshlrev_b32_sdwa v8, v29, v8 dst_sel:DWORD dst_unused:UNUSED_PAD src0_sel:DWORD src1_sel:WORD_0
	;; [unrolled: 2-line block ×3, first 2 shown]
	v_lshlrev_b32_e32 v4, 1, v4
	ds_read_u16 v32, v5
	ds_read_u16 v33, v0
	;; [unrolled: 1-line block ×8, first 2 shown]
	v_subrev_u32_e32 v0, 24, v28
	v_cmp_gt_i32_e64 s[2:3], s66, v0
	v_cmp_le_i32_e64 s[0:1], s66, v0
	s_mov_b64 s[62:63], 0
                                        ; implicit-def: $vgpr4
                                        ; implicit-def: $vgpr40
                                        ; implicit-def: $vgpr41
                                        ; implicit-def: $vgpr42
                                        ; implicit-def: $vgpr8_vgpr9
                                        ; implicit-def: $sgpr64
	s_and_saveexec_b64 s[4:5], s[0:1]
	s_xor_b64 s[4:5], exec, s[4:5]
	s_cbranch_execnz .LBB28_26
; %bb.12:                               ;   in Loop: Header=BB28_5 Depth=1
	s_or_saveexec_b64 s[0:1], s[4:5]
	v_lshrrev_b32_e32 v18, 3, v24
	s_xor_b64 exec, exec, s[0:1]
	s_cbranch_execnz .LBB28_41
.LBB28_13:                              ;   in Loop: Header=BB28_5 Depth=1
	s_or_b64 exec, exec, s[0:1]
	v_mov_b32_e32 v44, s64
	s_and_saveexec_b64 s[0:1], s[62:63]
	s_cbranch_execz .LBB28_15
.LBB28_14:                              ;   in Loop: Header=BB28_5 Depth=1
	global_load_ushort v44, v[8:9], off
.LBB28_15:                              ;   in Loop: Header=BB28_5 Depth=1
	s_or_b64 exec, exec, s[0:1]
	v_lshrrev_b16_e32 v0, 4, v1
	v_lshrrev_b16_e32 v8, 4, v10
	v_and_b32_e32 v9, 15, v10
	v_lshrrev_b16_e32 v10, 4, v45
	v_and_b32_e32 v13, 15, v45
	;; [unrolled: 2-line block ×3, first 2 shown]
	v_and_b32_e32 v45, 15, v45
	v_lshlrev_b32_sdwa v0, v29, v0 dst_sel:DWORD dst_unused:UNUSED_PAD src0_sel:DWORD src1_sel:WORD_0
	v_and_b32_e32 v1, 15, v1
	v_and_b32_e32 v8, 15, v8
	;; [unrolled: 1-line block ×3, first 2 shown]
	v_lshlrev_b32_sdwa v51, v29, v45 dst_sel:DWORD dst_unused:UNUSED_PAD src0_sel:DWORD src1_sel:WORD_0
	v_and_b32_e32 v11, 15, v11
	v_lshlrev_b32_e32 v1, 1, v1
	v_lshlrev_b32_sdwa v8, v29, v8 dst_sel:DWORD dst_unused:UNUSED_PAD src0_sel:DWORD src1_sel:WORD_0
	v_lshlrev_b32_e32 v9, 1, v9
	v_lshlrev_b32_sdwa v10, v29, v10 dst_sel:DWORD dst_unused:UNUSED_PAD src0_sel:DWORD src1_sel:WORD_0
	v_lshlrev_b32_e32 v13, 1, v13
	v_lshlrev_b32_e32 v11, 1, v11
	ds_read_u16 v45, v0
	ds_read_u16 v46, v1
	;; [unrolled: 1-line block ×8, first 2 shown]
	v_add_u32_e32 v0, -16, v28
	v_cmp_gt_i32_e64 s[0:1], s66, v0
	v_cmp_le_i32_e64 s[4:5], s66, v0
	s_mov_b64 s[62:63], 0
                                        ; implicit-def: $vgpr8
                                        ; implicit-def: $vgpr53
                                        ; implicit-def: $vgpr54
                                        ; implicit-def: $vgpr55
                                        ; implicit-def: $vgpr0_vgpr1
                                        ; implicit-def: $sgpr64
	s_and_saveexec_b64 s[72:73], s[4:5]
	s_xor_b64 s[4:5], exec, s[72:73]
	s_cbranch_execnz .LBB28_42
; %bb.16:                               ;   in Loop: Header=BB28_5 Depth=1
	s_andn2_saveexec_b64 s[2:3], s[4:5]
	s_cbranch_execnz .LBB28_59
.LBB28_17:                              ;   in Loop: Header=BB28_5 Depth=1
	s_or_b64 exec, exec, s[2:3]
	v_mov_b32_e32 v56, s64
	s_and_saveexec_b64 s[2:3], s[62:63]
	s_cbranch_execz .LBB28_19
.LBB28_18:                              ;   in Loop: Header=BB28_5 Depth=1
	global_load_ushort v56, v[0:1], off
.LBB28_19:                              ;   in Loop: Header=BB28_5 Depth=1
	s_or_b64 exec, exec, s[2:3]
	v_lshrrev_b16_e32 v0, 4, v2
	v_lshrrev_b16_e32 v57, 4, v12
	v_and_b32_e32 v0, 15, v0
	v_and_b32_e32 v1, 15, v2
	v_lshrrev_b16_e32 v2, 4, v14
	v_and_b32_e32 v13, 15, v14
	v_lshrrev_b16_e32 v14, 4, v15
	v_and_b32_e32 v57, 15, v57
	v_lshlrev_b32_sdwa v0, v29, v0 dst_sel:DWORD dst_unused:UNUSED_PAD src0_sel:DWORD src1_sel:WORD_0
	v_and_b32_e32 v2, 15, v2
	v_and_b32_e32 v14, 15, v14
	;; [unrolled: 1-line block ×3, first 2 shown]
	v_lshlrev_b32_sdwa v63, v29, v57 dst_sel:DWORD dst_unused:UNUSED_PAD src0_sel:DWORD src1_sel:WORD_0
	v_and_b32_e32 v12, 15, v12
	v_lshlrev_b32_e32 v1, 1, v1
	v_lshlrev_b32_sdwa v2, v29, v2 dst_sel:DWORD dst_unused:UNUSED_PAD src0_sel:DWORD src1_sel:WORD_0
	v_lshlrev_b32_e32 v13, 1, v13
	v_lshlrev_b32_sdwa v14, v29, v14 dst_sel:DWORD dst_unused:UNUSED_PAD src0_sel:DWORD src1_sel:WORD_0
	v_lshlrev_b32_e32 v15, 1, v15
	v_lshlrev_b32_e32 v12, 1, v12
	ds_read_u16 v57, v0
	ds_read_u16 v58, v1
	;; [unrolled: 1-line block ×8, first 2 shown]
	v_add_u32_e32 v0, -8, v28
	v_cmp_gt_i32_e64 s[2:3], s66, v0
	v_cmp_le_i32_e64 s[4:5], s66, v0
	s_mov_b64 s[62:63], 0
                                        ; implicit-def: $vgpr12
                                        ; implicit-def: $vgpr65
                                        ; implicit-def: $vgpr66
                                        ; implicit-def: $vgpr67
                                        ; implicit-def: $vgpr0_vgpr1
                                        ; implicit-def: $sgpr64
	s_and_saveexec_b64 s[72:73], s[4:5]
	s_xor_b64 s[4:5], exec, s[72:73]
	s_cbranch_execnz .LBB28_60
; %bb.20:                               ;   in Loop: Header=BB28_5 Depth=1
	s_andn2_saveexec_b64 s[0:1], s[4:5]
	s_cbranch_execnz .LBB28_77
.LBB28_21:                              ;   in Loop: Header=BB28_5 Depth=1
	s_or_b64 exec, exec, s[0:1]
	v_mov_b32_e32 v68, s64
	s_and_saveexec_b64 s[0:1], s[62:63]
	s_cbranch_execz .LBB28_23
.LBB28_22:                              ;   in Loop: Header=BB28_5 Depth=1
	global_load_ushort v68, v[0:1], off
.LBB28_23:                              ;   in Loop: Header=BB28_5 Depth=1
	s_or_b64 exec, exec, s[0:1]
	v_lshrrev_b16_e32 v0, 4, v3
	v_lshrrev_b16_e32 v69, 4, v43
	v_and_b32_e32 v0, 15, v0
	v_and_b32_e32 v1, 15, v3
	v_lshrrev_b16_e32 v2, 4, v22
	v_and_b32_e32 v3, 15, v22
	v_lshrrev_b16_e32 v22, 4, v23
	v_and_b32_e32 v69, 15, v69
	v_and_b32_e32 v43, 15, v43
	v_lshlrev_b32_sdwa v0, v29, v0 dst_sel:DWORD dst_unused:UNUSED_PAD src0_sel:DWORD src1_sel:WORD_0
	v_and_b32_e32 v2, 15, v2
	v_and_b32_e32 v22, 15, v22
	;; [unrolled: 1-line block ×3, first 2 shown]
	v_lshlrev_b32_sdwa v74, v29, v69 dst_sel:DWORD dst_unused:UNUSED_PAD src0_sel:DWORD src1_sel:WORD_0
	v_lshlrev_b32_e32 v75, 1, v43
	v_lshlrev_b32_e32 v1, 1, v1
	v_lshlrev_b32_sdwa v2, v29, v2 dst_sel:DWORD dst_unused:UNUSED_PAD src0_sel:DWORD src1_sel:WORD_0
	v_lshlrev_b32_e32 v3, 1, v3
	v_lshlrev_b32_sdwa v22, v29, v22 dst_sel:DWORD dst_unused:UNUSED_PAD src0_sel:DWORD src1_sel:WORD_0
	v_lshlrev_b32_e32 v23, 1, v23
	ds_read_u16 v43, v0
	ds_read_u16 v69, v1
	;; [unrolled: 1-line block ×8, first 2 shown]
	v_cmp_le_i32_e64 s[0:1], s66, v28
	s_mov_b64 s[4:5], 0
                                        ; implicit-def: $vgpr0
                                        ; implicit-def: $vgpr76
                                        ; implicit-def: $vgpr77
                                        ; implicit-def: $vgpr78
                                        ; implicit-def: $sgpr64
	s_and_saveexec_b64 s[62:63], s[0:1]
	s_xor_b64 s[62:63], exec, s[62:63]
	s_cbranch_execnz .LBB28_78
; %bb.24:                               ;   in Loop: Header=BB28_5 Depth=1
	s_or_saveexec_b64 s[0:1], s[62:63]
	v_mov_b64_e32 v[22:23], v[20:21]
	s_xor_b64 exec, exec, s[0:1]
	s_cbranch_execnz .LBB28_93
.LBB28_25:                              ;   in Loop: Header=BB28_5 Depth=1
	s_or_b64 exec, exec, s[0:1]
	v_mov_b32_e32 v18, s64
	s_and_saveexec_b64 s[0:1], s[4:5]
	s_cbranch_execz .LBB28_4
	s_branch .LBB28_94
.LBB28_26:                              ;   in Loop: Header=BB28_5 Depth=1
	global_load_ushort v4, v[20:21], off offset:-62
	v_subrev_u32_e32 v0, 31, v28
	v_cmp_gt_i32_e64 s[0:1], s66, v0
	v_mov_b32_e32 v5, 0
	v_mov_b32_e32 v40, 0
	s_and_saveexec_b64 s[62:63], s[0:1]
	s_cbranch_execz .LBB28_28
; %bb.27:                               ;   in Loop: Header=BB28_5 Depth=1
	global_load_ushort v40, v[20:21], off offset:-60
.LBB28_28:                              ;   in Loop: Header=BB28_5 Depth=1
	s_or_b64 exec, exec, s[62:63]
	v_subrev_u32_e32 v0, 30, v28
	v_cmp_gt_i32_e64 s[0:1], s66, v0
	s_and_saveexec_b64 s[62:63], s[0:1]
	s_cbranch_execz .LBB28_30
; %bb.29:                               ;   in Loop: Header=BB28_5 Depth=1
	global_load_ushort v5, v[20:21], off offset:-58
.LBB28_30:                              ;   in Loop: Header=BB28_5 Depth=1
	s_or_b64 exec, exec, s[62:63]
	v_subrev_u32_e32 v0, 29, v28
	v_cmp_gt_i32_e64 s[0:1], s66, v0
	v_mov_b32_e32 v6, 0
	v_mov_b32_e32 v41, 0
	s_and_saveexec_b64 s[62:63], s[0:1]
	s_cbranch_execz .LBB28_32
; %bb.31:                               ;   in Loop: Header=BB28_5 Depth=1
	global_load_ushort v41, v[20:21], off offset:-56
.LBB28_32:                              ;   in Loop: Header=BB28_5 Depth=1
	s_or_b64 exec, exec, s[62:63]
	v_subrev_u32_e32 v0, 28, v28
	v_cmp_gt_i32_e64 s[0:1], s66, v0
	s_and_saveexec_b64 s[62:63], s[0:1]
	s_cbranch_execz .LBB28_34
; %bb.33:                               ;   in Loop: Header=BB28_5 Depth=1
	global_load_ushort v6, v[20:21], off offset:-54
.LBB28_34:                              ;   in Loop: Header=BB28_5 Depth=1
	s_or_b64 exec, exec, s[62:63]
	;; [unrolled: 18-line block ×3, first 2 shown]
	v_subrev_u32_e32 v0, 25, v28
	v_cmp_gt_i32_e64 s[0:1], s66, v0
	s_mov_b64 s[62:63], 0
                                        ; implicit-def: $vgpr8_vgpr9
	s_and_saveexec_b64 s[64:65], s[0:1]
	s_xor_b64 s[0:1], exec, s[64:65]
; %bb.39:                               ;   in Loop: Header=BB28_5 Depth=1
	s_mov_b64 s[62:63], exec
	v_lshl_add_u64 v[8:9], v[20:21], 0, s[56:57]
; %bb.40:                               ;   in Loop: Header=BB28_5 Depth=1
	s_or_b64 exec, exec, s[0:1]
	s_mov_b32 s64, 0
	s_and_b64 s[62:63], s[62:63], exec
	s_or_saveexec_b64 s[0:1], s[4:5]
	v_lshrrev_b32_e32 v18, 3, v24
	s_xor_b64 exec, exec, s[0:1]
	s_cbranch_execz .LBB28_13
.LBB28_41:                              ;   in Loop: Header=BB28_5 Depth=1
	global_load_dwordx4 v[4:7], v[20:21], off offset:-62
	v_lshl_add_u64 v[8:9], v[18:19], 4, s[12:13]
	v_lshl_add_u64 v[8:9], v[8:9], 0, 14
	s_or_b64 s[62:63], s[62:63], exec
	s_waitcnt vmcnt(0)
	v_lshrrev_b32_e32 v40, 16, v4
	v_lshrrev_b32_e32 v41, 16, v5
	;; [unrolled: 1-line block ×3, first 2 shown]
	s_or_b64 exec, exec, s[0:1]
	v_mov_b32_e32 v44, s64
	s_and_saveexec_b64 s[0:1], s[62:63]
	s_cbranch_execnz .LBB28_14
	s_branch .LBB28_15
.LBB28_42:                              ;   in Loop: Header=BB28_5 Depth=1
	v_mov_b32_e32 v53, 0
	v_mov_b32_e32 v8, 0
	s_and_saveexec_b64 s[62:63], s[2:3]
	s_cbranch_execz .LBB28_44
; %bb.43:                               ;   in Loop: Header=BB28_5 Depth=1
	global_load_ushort v8, v[20:21], off offset:-46
.LBB28_44:                              ;   in Loop: Header=BB28_5 Depth=1
	s_or_b64 exec, exec, s[62:63]
	v_subrev_u32_e32 v0, 23, v28
	v_cmp_gt_i32_e64 s[2:3], s66, v0
	s_and_saveexec_b64 s[62:63], s[2:3]
	s_cbranch_execz .LBB28_46
; %bb.45:                               ;   in Loop: Header=BB28_5 Depth=1
	global_load_ushort v53, v[20:21], off offset:-44
.LBB28_46:                              ;   in Loop: Header=BB28_5 Depth=1
	s_or_b64 exec, exec, s[62:63]
	v_subrev_u32_e32 v0, 22, v28
	v_cmp_gt_i32_e64 s[2:3], s66, v0
	v_mov_b32_e32 v54, 0
	v_mov_b32_e32 v9, 0
	s_and_saveexec_b64 s[62:63], s[2:3]
	s_cbranch_execz .LBB28_48
; %bb.47:                               ;   in Loop: Header=BB28_5 Depth=1
	global_load_ushort v9, v[20:21], off offset:-42
.LBB28_48:                              ;   in Loop: Header=BB28_5 Depth=1
	s_or_b64 exec, exec, s[62:63]
	v_subrev_u32_e32 v0, 21, v28
	v_cmp_gt_i32_e64 s[2:3], s66, v0
	s_and_saveexec_b64 s[62:63], s[2:3]
	s_cbranch_execz .LBB28_50
; %bb.49:                               ;   in Loop: Header=BB28_5 Depth=1
	global_load_ushort v54, v[20:21], off offset:-40
.LBB28_50:                              ;   in Loop: Header=BB28_5 Depth=1
	s_or_b64 exec, exec, s[62:63]
	v_subrev_u32_e32 v0, 20, v28
	v_cmp_gt_i32_e64 s[2:3], s66, v0
	;; [unrolled: 18-line block ×3, first 2 shown]
	v_mov_b32_e32 v11, 0
	s_and_saveexec_b64 s[62:63], s[2:3]
	s_cbranch_execz .LBB28_56
; %bb.55:                               ;   in Loop: Header=BB28_5 Depth=1
	global_load_ushort v11, v[20:21], off offset:-34
.LBB28_56:                              ;   in Loop: Header=BB28_5 Depth=1
	s_or_b64 exec, exec, s[62:63]
	v_subrev_u32_e32 v0, 17, v28
	v_cmp_gt_i32_e64 s[2:3], s66, v0
	s_mov_b64 s[62:63], 0
                                        ; implicit-def: $vgpr0_vgpr1
	s_and_saveexec_b64 s[64:65], s[2:3]
; %bb.57:                               ;   in Loop: Header=BB28_5 Depth=1
	s_mov_b64 s[62:63], exec
	v_lshl_add_u64 v[0:1], v[20:21], 0, s[58:59]
; %bb.58:                               ;   in Loop: Header=BB28_5 Depth=1
	s_or_b64 exec, exec, s[64:65]
	s_mov_b32 s64, 0
	s_and_b64 s[62:63], s[62:63], exec
	s_andn2_saveexec_b64 s[2:3], s[4:5]
	s_cbranch_execz .LBB28_17
.LBB28_59:                              ;   in Loop: Header=BB28_5 Depth=1
	global_load_dwordx4 v[8:11], v[20:21], off offset:-46
	v_lshl_add_u64 v[0:1], v[18:19], 4, s[48:49]
	v_lshl_add_u64 v[0:1], v[0:1], 0, 14
	s_or_b64 s[62:63], s[62:63], exec
	s_waitcnt vmcnt(0)
	v_lshrrev_b32_e32 v53, 16, v8
	v_lshrrev_b32_e32 v54, 16, v9
	;; [unrolled: 1-line block ×3, first 2 shown]
	s_or_b64 exec, exec, s[2:3]
	v_mov_b32_e32 v56, s64
	s_and_saveexec_b64 s[2:3], s[62:63]
	s_cbranch_execnz .LBB28_18
	s_branch .LBB28_19
.LBB28_60:                              ;   in Loop: Header=BB28_5 Depth=1
	v_mov_b32_e32 v65, 0
	v_mov_b32_e32 v12, 0
	s_and_saveexec_b64 s[62:63], s[0:1]
	s_cbranch_execz .LBB28_62
; %bb.61:                               ;   in Loop: Header=BB28_5 Depth=1
	global_load_ushort v12, v[20:21], off offset:-30
.LBB28_62:                              ;   in Loop: Header=BB28_5 Depth=1
	s_or_b64 exec, exec, s[62:63]
	v_add_u32_e32 v0, -15, v28
	v_cmp_gt_i32_e64 s[0:1], s66, v0
	s_and_saveexec_b64 s[62:63], s[0:1]
	s_cbranch_execz .LBB28_64
; %bb.63:                               ;   in Loop: Header=BB28_5 Depth=1
	global_load_ushort v65, v[20:21], off offset:-28
.LBB28_64:                              ;   in Loop: Header=BB28_5 Depth=1
	s_or_b64 exec, exec, s[62:63]
	v_add_u32_e32 v0, -14, v28
	v_cmp_gt_i32_e64 s[0:1], s66, v0
	v_mov_b32_e32 v66, 0
	v_mov_b32_e32 v13, 0
	s_and_saveexec_b64 s[62:63], s[0:1]
	s_cbranch_execz .LBB28_66
; %bb.65:                               ;   in Loop: Header=BB28_5 Depth=1
	global_load_ushort v13, v[20:21], off offset:-26
.LBB28_66:                              ;   in Loop: Header=BB28_5 Depth=1
	s_or_b64 exec, exec, s[62:63]
	v_add_u32_e32 v0, -13, v28
	v_cmp_gt_i32_e64 s[0:1], s66, v0
	s_and_saveexec_b64 s[62:63], s[0:1]
	s_cbranch_execz .LBB28_68
; %bb.67:                               ;   in Loop: Header=BB28_5 Depth=1
	global_load_ushort v66, v[20:21], off offset:-24
.LBB28_68:                              ;   in Loop: Header=BB28_5 Depth=1
	s_or_b64 exec, exec, s[62:63]
	v_add_u32_e32 v0, -12, v28
	v_cmp_gt_i32_e64 s[0:1], s66, v0
	;; [unrolled: 18-line block ×3, first 2 shown]
	v_mov_b32_e32 v15, 0
	s_and_saveexec_b64 s[62:63], s[0:1]
	s_cbranch_execz .LBB28_74
; %bb.73:                               ;   in Loop: Header=BB28_5 Depth=1
	global_load_ushort v15, v[20:21], off offset:-18
.LBB28_74:                              ;   in Loop: Header=BB28_5 Depth=1
	s_or_b64 exec, exec, s[62:63]
	v_add_u32_e32 v0, -9, v28
	v_cmp_gt_i32_e64 s[0:1], s66, v0
	s_mov_b64 s[62:63], 0
                                        ; implicit-def: $vgpr0_vgpr1
	s_and_saveexec_b64 s[64:65], s[0:1]
; %bb.75:                               ;   in Loop: Header=BB28_5 Depth=1
	s_mov_b64 s[62:63], exec
	v_lshl_add_u64 v[0:1], v[20:21], 0, -16
; %bb.76:                               ;   in Loop: Header=BB28_5 Depth=1
	s_or_b64 exec, exec, s[64:65]
	s_mov_b32 s64, 0
	s_and_b64 s[62:63], s[62:63], exec
	s_andn2_saveexec_b64 s[0:1], s[4:5]
	s_cbranch_execz .LBB28_21
.LBB28_77:                              ;   in Loop: Header=BB28_5 Depth=1
	global_load_dwordx4 v[12:15], v[20:21], off offset:-30
	v_lshl_add_u64 v[0:1], v[18:19], 4, s[50:51]
	v_lshl_add_u64 v[0:1], v[0:1], 0, 14
	s_or_b64 s[62:63], s[62:63], exec
	s_waitcnt vmcnt(0)
	v_lshrrev_b32_e32 v65, 16, v12
	v_lshrrev_b32_e32 v66, 16, v13
	;; [unrolled: 1-line block ×3, first 2 shown]
	s_or_b64 exec, exec, s[0:1]
	v_mov_b32_e32 v68, s64
	s_and_saveexec_b64 s[0:1], s[62:63]
	s_cbranch_execnz .LBB28_22
	s_branch .LBB28_23
.LBB28_78:                              ;   in Loop: Header=BB28_5 Depth=1
	v_mov_b32_e32 v76, 0
	v_mov_b32_e32 v0, 0
	s_and_saveexec_b64 s[0:1], s[2:3]
	s_cbranch_execz .LBB28_80
; %bb.79:                               ;   in Loop: Header=BB28_5 Depth=1
	global_load_ushort v0, v[20:21], off offset:-14
.LBB28_80:                              ;   in Loop: Header=BB28_5 Depth=1
	s_or_b64 exec, exec, s[0:1]
	v_add_u32_e32 v1, -7, v28
	v_cmp_gt_i32_e64 s[0:1], s66, v1
	s_and_saveexec_b64 s[2:3], s[0:1]
	s_cbranch_execz .LBB28_82
; %bb.81:                               ;   in Loop: Header=BB28_5 Depth=1
	global_load_ushort v76, v[20:21], off offset:-12
.LBB28_82:                              ;   in Loop: Header=BB28_5 Depth=1
	s_or_b64 exec, exec, s[2:3]
	v_add_u32_e32 v1, -6, v28
	v_cmp_gt_i32_e64 s[0:1], s66, v1
	v_mov_b32_e32 v77, 0
	v_mov_b32_e32 v1, 0
	s_and_saveexec_b64 s[2:3], s[0:1]
	s_cbranch_execz .LBB28_84
; %bb.83:                               ;   in Loop: Header=BB28_5 Depth=1
	global_load_ushort v1, v[20:21], off offset:-10
.LBB28_84:                              ;   in Loop: Header=BB28_5 Depth=1
	s_or_b64 exec, exec, s[2:3]
	v_add_u32_e32 v2, -5, v28
	v_cmp_gt_i32_e64 s[0:1], s66, v2
	s_and_saveexec_b64 s[2:3], s[0:1]
	s_cbranch_execz .LBB28_86
; %bb.85:                               ;   in Loop: Header=BB28_5 Depth=1
	global_load_ushort v77, v[20:21], off offset:-8
.LBB28_86:                              ;   in Loop: Header=BB28_5 Depth=1
	s_or_b64 exec, exec, s[2:3]
	v_add_u32_e32 v2, -4, v28
	v_cmp_gt_i32_e64 s[0:1], s66, v2
	;; [unrolled: 18-line block ×3, first 2 shown]
	v_mov_b32_e32 v3, 0
	s_and_saveexec_b64 s[2:3], s[0:1]
	s_cbranch_execz .LBB28_92
; %bb.91:                               ;   in Loop: Header=BB28_5 Depth=1
	global_load_ushort v3, v[20:21], off offset:-2
.LBB28_92:                              ;   in Loop: Header=BB28_5 Depth=1
	s_or_b64 exec, exec, s[2:3]
	v_add_u32_e32 v18, -1, v28
	v_cmp_gt_i32_e64 s[0:1], s66, v18
	s_mov_b32 s64, 0
	s_and_b64 s[4:5], s[0:1], exec
	s_or_saveexec_b64 s[0:1], s[62:63]
	v_mov_b64_e32 v[22:23], v[20:21]
	s_xor_b64 exec, exec, s[0:1]
	s_cbranch_execz .LBB28_25
.LBB28_93:                              ;   in Loop: Header=BB28_5 Depth=1
	global_load_dwordx4 v[0:3], v[20:21], off offset:-14
	v_lshl_add_u64 v[22:23], v[18:19], 4, s[52:53]
	v_lshl_add_u64 v[22:23], v[22:23], 0, 14
	s_or_b64 s[4:5], s[4:5], exec
	s_waitcnt vmcnt(0)
	v_lshrrev_b32_e32 v76, 16, v0
	v_lshrrev_b32_e32 v77, 16, v1
	;; [unrolled: 1-line block ×3, first 2 shown]
	s_or_b64 exec, exec, s[0:1]
	v_mov_b32_e32 v18, s64
	s_and_saveexec_b64 s[0:1], s[4:5]
	s_cbranch_execz .LBB28_4
.LBB28_94:                              ;   in Loop: Header=BB28_5 Depth=1
	global_load_ushort v18, v[22:23], off
	s_branch .LBB28_4
.LBB28_95:                              ;   in Loop: Header=BB28_5 Depth=1
	v_cmp_gt_u32_e64 s[0:1], s68, v27
	v_mov_b32_e32 v18, 0x77
	v_mov_b32_e32 v0, 0x77
	s_and_saveexec_b64 s[62:63], s[0:1]
	s_cbranch_execz .LBB28_97
; %bb.96:                               ;   in Loop: Header=BB28_5 Depth=1
	v_lshl_add_u64 v[0:1], s[8:9], 0, v[6:7]
	global_load_ubyte v0, v[0:1], off
.LBB28_97:                              ;   in Loop: Header=BB28_5 Depth=1
	s_or_b64 exec, exec, s[62:63]
	v_add_u32_e32 v1, 1, v27
	v_cmp_gt_u32_e64 s[0:1], s68, v1
	s_and_saveexec_b64 s[62:63], s[0:1]
	s_cbranch_execz .LBB28_99
; %bb.98:                               ;   in Loop: Header=BB28_5 Depth=1
	v_lshl_add_u64 v[2:3], s[16:17], 0, v[6:7]
	global_load_ubyte v18, v[2:3], off
.LBB28_99:                              ;   in Loop: Header=BB28_5 Depth=1
	s_or_b64 exec, exec, s[62:63]
	v_add_u32_e32 v1, 2, v27
	v_cmp_gt_u32_e64 s[0:1], s68, v1
	v_mov_b32_e32 v4, 0x77
	v_mov_b32_e32 v32, 0x77
	s_and_saveexec_b64 s[62:63], s[0:1]
	s_cbranch_execz .LBB28_101
; %bb.100:                              ;   in Loop: Header=BB28_5 Depth=1
	v_lshl_add_u64 v[2:3], s[18:19], 0, v[6:7]
	global_load_ubyte v32, v[2:3], off
.LBB28_101:                             ;   in Loop: Header=BB28_5 Depth=1
	s_or_b64 exec, exec, s[62:63]
	v_add_u32_e32 v1, 3, v27
	v_cmp_gt_u32_e64 s[0:1], s68, v1
	s_and_saveexec_b64 s[62:63], s[0:1]
	s_cbranch_execz .LBB28_103
; %bb.102:                              ;   in Loop: Header=BB28_5 Depth=1
	v_lshl_add_u64 v[2:3], s[20:21], 0, v[6:7]
	global_load_ubyte v4, v[2:3], off
.LBB28_103:                             ;   in Loop: Header=BB28_5 Depth=1
	s_or_b64 exec, exec, s[62:63]
	v_add_u32_e32 v1, 4, v27
	v_cmp_gt_u32_e64 s[0:1], s68, v1
	v_mov_b32_e32 v10, 0x77
	v_mov_b32_e32 v1, 0x77
	s_and_saveexec_b64 s[62:63], s[0:1]
	s_cbranch_execz .LBB28_105
; %bb.104:                              ;   in Loop: Header=BB28_5 Depth=1
	v_lshl_add_u64 v[2:3], s[22:23], 0, v[6:7]
	global_load_ubyte v1, v[2:3], off
.LBB28_105:                             ;   in Loop: Header=BB28_5 Depth=1
	s_or_b64 exec, exec, s[62:63]
	v_add_u32_e32 v2, 5, v27
	v_cmp_gt_u32_e64 s[0:1], s68, v2
	s_and_saveexec_b64 s[62:63], s[0:1]
	s_cbranch_execz .LBB28_107
; %bb.106:                              ;   in Loop: Header=BB28_5 Depth=1
	v_lshl_add_u64 v[2:3], s[24:25], 0, v[6:7]
	global_load_ubyte v10, v[2:3], off
.LBB28_107:                             ;   in Loop: Header=BB28_5 Depth=1
	;; [unrolled: 20-line block ×6, first 2 shown]
	s_or_b64 exec, exec, s[62:63]
	v_add_u32_e32 v5, 14, v27
	v_cmp_gt_u32_e64 s[0:1], s68, v5
	v_mov_b32_e32 v23, 0x77
	s_and_saveexec_b64 s[62:63], s[0:1]
	s_cbranch_execz .LBB28_125
; %bb.124:                              ;   in Loop: Header=BB28_5 Depth=1
	v_lshl_add_u64 v[8:9], s[44:45], 0, v[6:7]
	global_load_ubyte v23, v[8:9], off
.LBB28_125:                             ;   in Loop: Header=BB28_5 Depth=1
	s_or_b64 exec, exec, s[62:63]
	v_add_u32_e32 v5, 15, v27
	v_cmp_gt_u32_e64 s[0:1], s68, v5
	s_mov_b64 s[62:63], 0
                                        ; implicit-def: $vgpr8_vgpr9
	s_and_saveexec_b64 s[64:65], s[0:1]
	s_xor_b64 s[0:1], exec, s[64:65]
; %bb.126:                              ;   in Loop: Header=BB28_5 Depth=1
	s_mov_b64 s[62:63], exec
	v_lshl_add_u64 v[8:9], s[46:47], 0, v[6:7]
; %bb.127:                              ;   in Loop: Header=BB28_5 Depth=1
	s_or_b64 exec, exec, s[0:1]
	s_movk_i32 s64, 0x77
	s_and_b64 s[62:63], s[62:63], exec
                                        ; implicit-def: $vgpr7
	s_andn2_saveexec_b64 s[0:1], s[4:5]
	s_cbranch_execz .LBB28_8
.LBB28_128:                             ;   in Loop: Header=BB28_5 Depth=1
	s_waitcnt vmcnt(0)
	v_lshrrev_b32_e32 v0, 28, v7
	v_add_u32_e32 v0, v6, v0
	v_ashrrev_i32_e32 v0, 4, v0
	v_ashrrev_i32_e32 v1, 31, v0
	v_lshl_add_u64 v[4:5], v[0:1], 4, s[8:9]
	global_load_dwordx4 v[0:3], v[4:5], off
	v_lshl_add_u64 v[8:9], v[4:5], 0, 15
	s_or_b64 s[62:63], s[62:63], exec
	s_waitcnt vmcnt(0)
	v_lshrrev_b32_e32 v18, 8, v0
	v_lshrrev_b32_e32 v32, 16, v0
	v_lshrrev_b64 v[4:5], 24, v[0:1]
	v_lshrrev_b32_e32 v10, 8, v1
	v_lshrrev_b32_e32 v45, 16, v1
	;; [unrolled: 1-line block ×5, first 2 shown]
	v_lshrrev_b64 v[12:13], 24, v[2:3]
	v_lshrrev_b32_e32 v22, 8, v3
	v_lshrrev_b32_e32 v23, 16, v3
	s_or_b64 exec, exec, s[0:1]
	v_mov_b32_e32 v43, s64
	s_and_saveexec_b64 s[0:1], s[62:63]
	s_cbranch_execnz .LBB28_9
	s_branch .LBB28_10
.LBB28_129:
	s_or_b64 exec, exec, s[54:55]
.LBB28_130:
	s_or_b64 exec, exec, s[6:7]
	v_mov_b32_dpp v0, v30 quad_perm:[1,0,3,2] row_mask:0xf bank_mask:0xf
	v_add_f32_e32 v0, v30, v0
	v_bfrev_b32_e32 v2, 0.5
	v_cmp_gt_i32_e32 vcc, s33, v16
	v_mov_b32_dpp v1, v0 quad_perm:[2,3,0,1] row_mask:0xf bank_mask:0xf
	v_add_f32_e32 v0, v0, v1
	v_cmp_eq_u32_e64 s[0:1], 0, v17
	s_and_b64 s[0:1], s[0:1], vcc
	v_mov_b32_dpp v1, v0 row_ror:4 row_mask:0xf bank_mask:0xf
	v_add_f32_e32 v0, v0, v1
	s_nop 1
	v_mov_b32_dpp v1, v0 row_ror:8 row_mask:0xf bank_mask:0xf
	v_add_f32_e32 v0, v0, v1
	s_nop 1
	v_mov_b32_dpp v1, v0 row_bcast:15 row_mask:0xf bank_mask:0xf
	v_add_f32_e32 v0, v0, v1
	s_nop 1
	v_mov_b32_dpp v1, v0 row_bcast:31 row_mask:0xf bank_mask:0xf
	v_add_f32_e32 v0, v0, v1
	v_mbcnt_lo_u32_b32 v1, -1, 0
	v_mbcnt_hi_u32_b32 v1, -1, v1
	v_lshl_or_b32 v1, v1, 2, v2
	ds_bpermute_b32 v0, v1, v0
	s_and_saveexec_b64 s[2:3], s[0:1]
	s_cbranch_execz .LBB28_132
; %bb.131:
	s_waitcnt lgkmcnt(0)
	v_cvt_f16_f32_e32 v4, v0
	v_mov_b32_e32 v2, s14
	v_mov_b32_e32 v3, s15
	v_ashrrev_i32_e32 v17, 31, v16
	v_lshl_add_u64 v[0:1], v[16:17], 1, v[2:3]
	global_store_short v[0:1], v4, off
.LBB28_132:
	s_endpgm
	.section	.rodata,"a",@progbits
	.p2align	6, 0x0
	.amdhsa_kernel _Z26kgemm_4bit_inference_naiveI6__halfLi128ELi16EEviiiPT_PhPfPKfS2_iiii
		.amdhsa_group_segment_fixed_size 32
		.amdhsa_private_segment_fixed_size 0
		.amdhsa_kernarg_size 72
		.amdhsa_user_sgpr_count 2
		.amdhsa_user_sgpr_dispatch_ptr 0
		.amdhsa_user_sgpr_queue_ptr 0
		.amdhsa_user_sgpr_kernarg_segment_ptr 1
		.amdhsa_user_sgpr_dispatch_id 0
		.amdhsa_user_sgpr_kernarg_preload_length 0
		.amdhsa_user_sgpr_kernarg_preload_offset 0
		.amdhsa_user_sgpr_private_segment_size 0
		.amdhsa_uses_dynamic_stack 0
		.amdhsa_enable_private_segment 0
		.amdhsa_system_sgpr_workgroup_id_x 1
		.amdhsa_system_sgpr_workgroup_id_y 0
		.amdhsa_system_sgpr_workgroup_id_z 0
		.amdhsa_system_sgpr_workgroup_info 0
		.amdhsa_system_vgpr_workitem_id 0
		.amdhsa_next_free_vgpr 79
		.amdhsa_next_free_sgpr 74
		.amdhsa_accum_offset 80
		.amdhsa_reserve_vcc 1
		.amdhsa_float_round_mode_32 0
		.amdhsa_float_round_mode_16_64 0
		.amdhsa_float_denorm_mode_32 3
		.amdhsa_float_denorm_mode_16_64 3
		.amdhsa_dx10_clamp 1
		.amdhsa_ieee_mode 1
		.amdhsa_fp16_overflow 0
		.amdhsa_tg_split 0
		.amdhsa_exception_fp_ieee_invalid_op 0
		.amdhsa_exception_fp_denorm_src 0
		.amdhsa_exception_fp_ieee_div_zero 0
		.amdhsa_exception_fp_ieee_overflow 0
		.amdhsa_exception_fp_ieee_underflow 0
		.amdhsa_exception_fp_ieee_inexact 0
		.amdhsa_exception_int_div_zero 0
	.end_amdhsa_kernel
	.section	.text._Z26kgemm_4bit_inference_naiveI6__halfLi128ELi16EEviiiPT_PhPfPKfS2_iiii,"axG",@progbits,_Z26kgemm_4bit_inference_naiveI6__halfLi128ELi16EEviiiPT_PhPfPKfS2_iiii,comdat
.Lfunc_end28:
	.size	_Z26kgemm_4bit_inference_naiveI6__halfLi128ELi16EEviiiPT_PhPfPKfS2_iiii, .Lfunc_end28-_Z26kgemm_4bit_inference_naiveI6__halfLi128ELi16EEviiiPT_PhPfPKfS2_iiii
                                        ; -- End function
	.section	.AMDGPU.csdata,"",@progbits
; Kernel info:
; codeLenInByte = 4720
; NumSgprs: 80
; NumVgprs: 79
; NumAgprs: 0
; TotalNumVgprs: 79
; ScratchSize: 0
; MemoryBound: 0
; FloatMode: 240
; IeeeMode: 1
; LDSByteSize: 32 bytes/workgroup (compile time only)
; SGPRBlocks: 9
; VGPRBlocks: 9
; NumSGPRsForWavesPerEU: 80
; NumVGPRsForWavesPerEU: 79
; AccumOffset: 80
; Occupancy: 6
; WaveLimiterHint : 0
; COMPUTE_PGM_RSRC2:SCRATCH_EN: 0
; COMPUTE_PGM_RSRC2:USER_SGPR: 2
; COMPUTE_PGM_RSRC2:TRAP_HANDLER: 0
; COMPUTE_PGM_RSRC2:TGID_X_EN: 1
; COMPUTE_PGM_RSRC2:TGID_Y_EN: 0
; COMPUTE_PGM_RSRC2:TGID_Z_EN: 0
; COMPUTE_PGM_RSRC2:TIDIG_COMP_CNT: 0
; COMPUTE_PGM_RSRC3_GFX90A:ACCUM_OFFSET: 19
; COMPUTE_PGM_RSRC3_GFX90A:TG_SPLIT: 0
	.section	.text._Z26kgemm_4bit_inference_naiveI12hip_bfloat16Li128ELi16EEviiiPT_PhPfPKfS2_iiii,"axG",@progbits,_Z26kgemm_4bit_inference_naiveI12hip_bfloat16Li128ELi16EEviiiPT_PhPfPKfS2_iiii,comdat
